;; amdgpu-corpus repo=zjin-lcf/HeCBench kind=compiled arch=gfx906 opt=O3
	.amdgcn_target "amdgcn-amd-amdhsa--gfx906"
	.amdhsa_code_object_version 6
	.text
	.protected	_Z15smoothingFilteriiiiPKfPiPf ; -- Begin function _Z15smoothingFilteriiiiPKfPiPf
	.globl	_Z15smoothingFilteriiiiPKfPiPf
	.p2align	8
	.type	_Z15smoothingFilteriiiiPKfPiPf,@function
_Z15smoothingFilteriiiiPKfPiPf:         ; @_Z15smoothingFilteriiiiPKfPiPf
; %bb.0:
	s_load_dword s0, s[4:5], 0x34
	s_load_dwordx4 s[8:11], s[4:5], 0x0
	s_load_dwordx2 s[16:17], s[4:5], 0x10
	s_waitcnt lgkmcnt(0)
	s_lshr_b32 s20, s0, 16
	s_and_b32 s21, s0, 0xffff
	s_mul_i32 s6, s6, s21
	s_mul_i32 s7, s7, s20
	v_add_u32_e32 v4, s6, v0
	v_add_u32_e32 v7, s7, v1
	v_mad_u32_u24 v5, v1, s21, v0
	v_mad_u64_u32 v[2:3], s[0:1], v7, s8, v[4:5]
	v_cmp_gt_i32_e32 vcc, s8, v4
	v_cmp_gt_i32_e64 s[0:1], s9, v7
	s_and_b64 s[0:1], vcc, s[0:1]
	v_ashrrev_i32_e32 v3, 31, v2
	s_and_saveexec_b64 s[2:3], s[0:1]
	s_cbranch_execz .LBB0_2
; %bb.1:
	v_lshlrev_b64 v[8:9], 2, v[2:3]
	v_mov_b32_e32 v6, s17
	v_add_co_u32_e32 v8, vcc, s16, v8
	v_addc_co_u32_e32 v9, vcc, v6, v9, vcc
	global_load_dword v6, v[8:9], off
	v_lshlrev_b32_e32 v8, 2, v5
	s_waitcnt vmcnt(0)
	ds_write_b32 v8, v6
.LBB0_2:
	s_or_b64 exec, exec, s[2:3]
	s_waitcnt lgkmcnt(0)
	s_barrier
	s_and_saveexec_b64 s[2:3], s[0:1]
	s_cbranch_execz .LBB0_25
; %bb.3:
	s_load_dwordx4 s[12:15], s[4:5], 0x18
	s_cmp_lt_i32 s10, 1
	s_cselect_b64 s[0:1], -1, 0
	s_cmp_lt_i32 s11, 2
	s_cselect_b64 s[2:3], -1, 0
	s_or_b64 s[0:1], s[0:1], s[2:3]
	s_mov_b32 s23, 1
	s_mov_b32 s22, 2
	s_and_b64 vcc, exec, s[0:1]
	s_cbranch_vccnz .LBB0_16
; %bb.4:
	v_add_u32_e32 v6, -1, v7
	v_mad_u64_u32 v[8:9], s[0:1], s8, v6, v[0:1]
	v_cvt_f32_i32_e32 v9, s10
	v_lshlrev_b32_e32 v5, 2, v5
	s_lshl_b32 s24, s21, 2
	v_subrev_u32_e32 v5, s24, v5
	s_not_b32 s10, s8
	v_add3_u32 v10, v8, s6, -1
	v_add_u32_e32 v11, -4, v5
	s_xor_b32 s25, s24, -4
	s_mov_b32 s26, 3
	s_mov_b64 s[4:5], 0
	v_min_i32_e32 v12, v4, v7
	v_min_u32_e32 v13, v0, v1
	s_branch .LBB0_6
.LBB0_5:                                ;   in Loop: Header=BB0_6 Depth=1
	s_add_i32 s2, s23, 1
	s_cmp_ge_i32 s2, s11
	v_cmp_nlt_f32_e32 vcc, v14, v9
	s_cselect_b64 s[0:1], -1, 0
	s_or_b64 s[0:1], vcc, s[0:1]
	s_add_i32 s22, s22, 1
	s_add_i32 s26, s26, 2
	s_and_b64 s[0:1], exec, s[0:1]
	v_add_u32_e32 v10, s10, v10
	v_add_u32_e32 v11, s25, v11
	s_or_b64 s[4:5], s[0:1], s[4:5]
	v_mov_b32_e32 v14, s23
	s_mov_b32 s23, s2
	s_andn2_b64 exec, exec, s[4:5]
	s_cbranch_execz .LBB0_17
.LBB0_6:                                ; =>This Loop Header: Depth=1
                                        ;     Child Loop BB0_8 Depth 2
                                        ;       Child Loop BB0_11 Depth 3
	v_add_u32_e32 v5, s23, v4
	v_cmp_gt_i32_e32 vcc, s9, v5
	v_add_u32_e32 v5, s23, v7
	v_cmp_gt_i32_e64 s[2:3], s8, v5
	v_add_u32_e32 v5, s23, v0
	v_cmp_le_i32_e64 s[0:1], s23, v12
	s_and_b64 s[2:3], vcc, s[2:3]
	v_cmp_gt_u32_e32 vcc, s21, v5
	v_add_u32_e32 v5, s23, v1
	s_and_b64 s[6:7], s[2:3], s[0:1]
	v_cmp_gt_u32_e64 s[0:1], s20, v5
	v_cmp_le_u32_e64 s[2:3], s23, v13
	s_and_b64 s[0:1], vcc, s[0:1]
	s_sub_i32 s27, 0, s23
	s_and_b64 s[0:1], s[0:1], s[2:3]
	v_mov_b32_e32 v14, 0
	v_mov_b32_e32 v8, 0
	;; [unrolled: 1-line block ×4, first 2 shown]
	s_branch .LBB0_8
.LBB0_7:                                ;   in Loop: Header=BB0_8 Depth=2
	s_add_i32 s27, s27, 1
	v_add_u32_e32 v16, s8, v16
	s_cmp_eq_u32 s27, s22
	v_add_u32_e32 v15, s24, v15
	s_cbranch_scc1 .LBB0_5
.LBB0_8:                                ;   Parent Loop BB0_6 Depth=1
                                        ; =>  This Loop Header: Depth=2
                                        ;       Child Loop BB0_11 Depth 3
	v_mov_b32_e32 v17, v15
	v_mov_b32_e32 v5, v16
	s_mov_b32 s28, s26
	s_branch .LBB0_11
.LBB0_9:                                ;   in Loop: Header=BB0_11 Depth=3
	s_or_b64 exec, exec, s[18:19]
	v_add_u32_e32 v8, 1, v8
.LBB0_10:                               ;   in Loop: Header=BB0_11 Depth=3
	s_or_b64 exec, exec, s[2:3]
	s_add_i32 s28, s28, -1
	v_add_u32_e32 v5, 1, v5
	s_cmp_eq_u32 s28, 0
	v_add_u32_e32 v17, 4, v17
	s_cbranch_scc1 .LBB0_7
.LBB0_11:                               ;   Parent Loop BB0_6 Depth=1
                                        ;     Parent Loop BB0_8 Depth=2
                                        ; =>    This Inner Loop Header: Depth=3
	s_and_saveexec_b64 s[2:3], s[6:7]
	s_cbranch_execz .LBB0_10
; %bb.12:                               ;   in Loop: Header=BB0_11 Depth=3
	s_and_saveexec_b64 s[18:19], s[0:1]
	s_xor_b64 s[18:19], exec, s[18:19]
	s_cbranch_execz .LBB0_14
; %bb.13:                               ;   in Loop: Header=BB0_11 Depth=3
	ds_read_b32 v6, v17
	s_waitcnt lgkmcnt(0)
	v_add_f32_e32 v14, v14, v6
.LBB0_14:                               ;   in Loop: Header=BB0_11 Depth=3
	s_andn2_saveexec_b64 s[18:19], s[18:19]
	s_cbranch_execz .LBB0_9
; %bb.15:                               ;   in Loop: Header=BB0_11 Depth=3
	v_ashrrev_i32_e32 v6, 31, v5
	v_lshlrev_b64 v[18:19], 2, v[5:6]
	v_mov_b32_e32 v6, s17
	v_add_co_u32_e32 v18, vcc, s16, v18
	v_addc_co_u32_e32 v19, vcc, v6, v19, vcc
	global_load_dword v6, v[18:19], off
	s_waitcnt vmcnt(0)
	v_add_f32_e32 v14, v14, v6
	s_branch .LBB0_9
.LBB0_16:
	v_mov_b32_e32 v14, 1
	v_mov_b32_e32 v8, 0
	s_branch .LBB0_18
.LBB0_17:
	s_or_b64 exec, exec, s[4:5]
.LBB0_18:
	v_cvt_f32_i32_e32 v4, v8
	s_mov_b64 s[2:3], 0
	v_div_scale_f32 v0, s[0:1], v4, v4, 1.0
	v_div_scale_f32 v1, vcc, 1.0, v4, 1.0
	v_rcp_f32_e32 v5, v0
	v_fma_f32 v6, -v0, v5, 1.0
	v_fmac_f32_e32 v5, v6, v5
	v_mul_f32_e32 v6, v1, v5
	v_fma_f32 v7, -v0, v6, v1
	v_fmac_f32_e32 v6, v7, v5
	v_fma_f32 v0, -v0, v6, v1
	v_div_fmas_f32 v5, v0, v5, v6
	v_lshlrev_b64 v[0:1], 2, v[2:3]
	s_waitcnt lgkmcnt(0)
	v_mov_b32_e32 v3, s13
	v_sub_u32_e32 v7, 0, v14
	v_add_co_u32_e64 v0, s[0:1], s12, v0
	v_cmp_ne_u32_e32 vcc, 0, v8
	v_addc_co_u32_e64 v1, s[0:1], v3, v1, s[0:1]
	v_mov_b32_e32 v9, v7
	global_store_dword v[0:1], v14, off
	v_div_fixup_f32 v8, v5, v4, 1.0
	s_branch .LBB0_20
.LBB0_19:                               ;   in Loop: Header=BB0_20 Depth=1
	s_or_b64 exec, exec, s[4:5]
	v_add_u32_e32 v0, 1, v9
	v_cmp_eq_u32_e64 s[0:1], v9, v14
	s_or_b64 s[2:3], s[0:1], s[2:3]
	v_mov_b32_e32 v9, v0
	s_andn2_b64 exec, exec, s[2:3]
	s_cbranch_execz .LBB0_25
.LBB0_20:                               ; =>This Loop Header: Depth=1
                                        ;     Child Loop BB0_22 Depth 2
                                        ;       Child Loop BB0_24 Depth 3
	v_mad_u64_u32 v[0:1], s[0:1], v9, s8, v[2:3]
	s_mov_b64 s[4:5], 0
	v_mov_b32_e32 v1, v7
	s_branch .LBB0_22
.LBB0_21:                               ;   in Loop: Header=BB0_22 Depth=2
	s_or_b64 exec, exec, s[6:7]
	v_add_u32_e32 v3, 1, v1
	v_cmp_eq_u32_e64 s[0:1], v1, v14
	s_or_b64 s[4:5], s[0:1], s[4:5]
	v_mov_b32_e32 v1, v3
	s_andn2_b64 exec, exec, s[4:5]
	s_cbranch_execz .LBB0_19
.LBB0_22:                               ;   Parent Loop BB0_20 Depth=1
                                        ; =>  This Loop Header: Depth=2
                                        ;       Child Loop BB0_24 Depth 3
	s_and_saveexec_b64 s[6:7], vcc
	s_cbranch_execz .LBB0_21
; %bb.23:                               ;   in Loop: Header=BB0_22 Depth=2
	v_add_u32_e32 v3, v0, v1
	v_ashrrev_i32_e32 v4, 31, v3
	v_lshlrev_b64 v[3:4], 2, v[3:4]
	v_mov_b32_e32 v5, s15
	v_add_co_u32_e64 v3, s[0:1], s14, v3
	v_addc_co_u32_e64 v4, s[0:1], v5, v4, s[0:1]
	global_load_dword v6, v[3:4], off
	s_mov_b64 s[10:11], 0
.LBB0_24:                               ;   Parent Loop BB0_20 Depth=1
                                        ;     Parent Loop BB0_22 Depth=2
                                        ; =>    This Inner Loop Header: Depth=3
	s_waitcnt vmcnt(0)
	v_add_f32_e32 v5, v6, v8
	global_atomic_cmpswap v5, v[3:4], v[5:6], off glc
	s_waitcnt vmcnt(0)
	v_cmp_eq_u32_e64 s[0:1], v5, v6
	s_or_b64 s[10:11], s[0:1], s[10:11]
	v_mov_b32_e32 v6, v5
	s_andn2_b64 exec, exec, s[10:11]
	s_cbranch_execnz .LBB0_24
	s_branch .LBB0_21
.LBB0_25:
	s_endpgm
	.section	.rodata,"a",@progbits
	.p2align	6, 0x0
	.amdhsa_kernel _Z15smoothingFilteriiiiPKfPiPf
		.amdhsa_group_segment_fixed_size 4096
		.amdhsa_private_segment_fixed_size 0
		.amdhsa_kernarg_size 296
		.amdhsa_user_sgpr_count 6
		.amdhsa_user_sgpr_private_segment_buffer 1
		.amdhsa_user_sgpr_dispatch_ptr 0
		.amdhsa_user_sgpr_queue_ptr 0
		.amdhsa_user_sgpr_kernarg_segment_ptr 1
		.amdhsa_user_sgpr_dispatch_id 0
		.amdhsa_user_sgpr_flat_scratch_init 0
		.amdhsa_user_sgpr_private_segment_size 0
		.amdhsa_uses_dynamic_stack 0
		.amdhsa_system_sgpr_private_segment_wavefront_offset 0
		.amdhsa_system_sgpr_workgroup_id_x 1
		.amdhsa_system_sgpr_workgroup_id_y 1
		.amdhsa_system_sgpr_workgroup_id_z 0
		.amdhsa_system_sgpr_workgroup_info 0
		.amdhsa_system_vgpr_workitem_id 1
		.amdhsa_next_free_vgpr 29
		.amdhsa_next_free_sgpr 61
		.amdhsa_reserve_vcc 1
		.amdhsa_reserve_flat_scratch 0
		.amdhsa_float_round_mode_32 0
		.amdhsa_float_round_mode_16_64 0
		.amdhsa_float_denorm_mode_32 3
		.amdhsa_float_denorm_mode_16_64 3
		.amdhsa_dx10_clamp 1
		.amdhsa_ieee_mode 1
		.amdhsa_fp16_overflow 0
		.amdhsa_exception_fp_ieee_invalid_op 0
		.amdhsa_exception_fp_denorm_src 0
		.amdhsa_exception_fp_ieee_div_zero 0
		.amdhsa_exception_fp_ieee_overflow 0
		.amdhsa_exception_fp_ieee_underflow 0
		.amdhsa_exception_fp_ieee_inexact 0
		.amdhsa_exception_int_div_zero 0
	.end_amdhsa_kernel
	.text
.Lfunc_end0:
	.size	_Z15smoothingFilteriiiiPKfPiPf, .Lfunc_end0-_Z15smoothingFilteriiiiPKfPiPf
                                        ; -- End function
	.set _Z15smoothingFilteriiiiPKfPiPf.num_vgpr, 20
	.set _Z15smoothingFilteriiiiPKfPiPf.num_agpr, 0
	.set _Z15smoothingFilteriiiiPKfPiPf.numbered_sgpr, 29
	.set _Z15smoothingFilteriiiiPKfPiPf.num_named_barrier, 0
	.set _Z15smoothingFilteriiiiPKfPiPf.private_seg_size, 0
	.set _Z15smoothingFilteriiiiPKfPiPf.uses_vcc, 1
	.set _Z15smoothingFilteriiiiPKfPiPf.uses_flat_scratch, 0
	.set _Z15smoothingFilteriiiiPKfPiPf.has_dyn_sized_stack, 0
	.set _Z15smoothingFilteriiiiPKfPiPf.has_recursion, 0
	.set _Z15smoothingFilteriiiiPKfPiPf.has_indirect_call, 0
	.section	.AMDGPU.csdata,"",@progbits
; Kernel info:
; codeLenInByte = 932
; TotalNumSgprs: 33
; NumVgprs: 20
; ScratchSize: 0
; MemoryBound: 0
; FloatMode: 240
; IeeeMode: 1
; LDSByteSize: 4096 bytes/workgroup (compile time only)
; SGPRBlocks: 8
; VGPRBlocks: 7
; NumSGPRsForWavesPerEU: 65
; NumVGPRsForWavesPerEU: 29
; Occupancy: 8
; WaveLimiterHint : 0
; COMPUTE_PGM_RSRC2:SCRATCH_EN: 0
; COMPUTE_PGM_RSRC2:USER_SGPR: 6
; COMPUTE_PGM_RSRC2:TRAP_HANDLER: 0
; COMPUTE_PGM_RSRC2:TGID_X_EN: 1
; COMPUTE_PGM_RSRC2:TGID_Y_EN: 1
; COMPUTE_PGM_RSRC2:TGID_Z_EN: 0
; COMPUTE_PGM_RSRC2:TIDIG_COMP_CNT: 1
	.text
	.protected	_Z15normalizeFilteriiPfPKf ; -- Begin function _Z15normalizeFilteriiPfPKf
	.globl	_Z15normalizeFilteriiPfPKf
	.p2align	8
	.type	_Z15normalizeFilteriiPfPKf,@function
_Z15normalizeFilteriiPfPKf:             ; @_Z15normalizeFilteriiPfPKf
; %bb.0:
	s_load_dword s0, s[4:5], 0x24
	s_load_dwordx2 s[2:3], s[4:5], 0x0
	s_waitcnt lgkmcnt(0)
	s_lshr_b32 s1, s0, 16
	s_and_b32 s0, s0, 0xffff
	s_mul_i32 s6, s6, s0
	s_mul_i32 s7, s7, s1
	v_add_u32_e32 v0, s6, v0
	v_add_u32_e32 v1, s7, v1
	v_cmp_gt_i32_e32 vcc, s2, v0
	v_cmp_gt_i32_e64 s[0:1], s3, v1
	s_and_b64 s[0:1], vcc, s[0:1]
	s_and_saveexec_b64 s[6:7], s[0:1]
	s_cbranch_execz .LBB1_3
; %bb.1:
	v_mad_u64_u32 v[0:1], s[0:1], v1, s2, v[0:1]
	s_load_dwordx2 s[0:1], s[4:5], 0x10
	v_ashrrev_i32_e32 v1, 31, v0
	v_lshlrev_b64 v[0:1], 2, v[0:1]
	s_waitcnt lgkmcnt(0)
	v_mov_b32_e32 v3, s1
	v_add_co_u32_e32 v2, vcc, s0, v0
	v_addc_co_u32_e32 v3, vcc, v3, v1, vcc
	global_load_dword v2, v[2:3], off
	s_waitcnt vmcnt(0)
	v_cmp_neq_f32_e32 vcc, 0, v2
	s_and_b64 exec, exec, vcc
	s_cbranch_execz .LBB1_3
; %bb.2:
	s_load_dwordx2 s[0:1], s[4:5], 0x8
	s_waitcnt lgkmcnt(0)
	v_mov_b32_e32 v3, s1
	v_add_co_u32_e32 v0, vcc, s0, v0
	v_addc_co_u32_e32 v1, vcc, v3, v1, vcc
	global_load_dword v3, v[0:1], off
	s_waitcnt vmcnt(0)
	v_div_scale_f32 v4, s[0:1], v2, v2, v3
	v_div_scale_f32 v5, vcc, v3, v2, v3
	v_rcp_f32_e32 v6, v4
	v_fma_f32 v7, -v4, v6, 1.0
	v_fmac_f32_e32 v6, v7, v6
	v_mul_f32_e32 v7, v5, v6
	v_fma_f32 v8, -v4, v7, v5
	v_fmac_f32_e32 v7, v8, v6
	v_fma_f32 v4, -v4, v7, v5
	v_div_fmas_f32 v4, v4, v6, v7
	v_div_fixup_f32 v2, v4, v2, v3
	global_store_dword v[0:1], v2, off
.LBB1_3:
	s_endpgm
	.section	.rodata,"a",@progbits
	.p2align	6, 0x0
	.amdhsa_kernel _Z15normalizeFilteriiPfPKf
		.amdhsa_group_segment_fixed_size 0
		.amdhsa_private_segment_fixed_size 0
		.amdhsa_kernarg_size 280
		.amdhsa_user_sgpr_count 6
		.amdhsa_user_sgpr_private_segment_buffer 1
		.amdhsa_user_sgpr_dispatch_ptr 0
		.amdhsa_user_sgpr_queue_ptr 0
		.amdhsa_user_sgpr_kernarg_segment_ptr 1
		.amdhsa_user_sgpr_dispatch_id 0
		.amdhsa_user_sgpr_flat_scratch_init 0
		.amdhsa_user_sgpr_private_segment_size 0
		.amdhsa_uses_dynamic_stack 0
		.amdhsa_system_sgpr_private_segment_wavefront_offset 0
		.amdhsa_system_sgpr_workgroup_id_x 1
		.amdhsa_system_sgpr_workgroup_id_y 1
		.amdhsa_system_sgpr_workgroup_id_z 0
		.amdhsa_system_sgpr_workgroup_info 0
		.amdhsa_system_vgpr_workitem_id 1
		.amdhsa_next_free_vgpr 9
		.amdhsa_next_free_sgpr 8
		.amdhsa_reserve_vcc 1
		.amdhsa_reserve_flat_scratch 0
		.amdhsa_float_round_mode_32 0
		.amdhsa_float_round_mode_16_64 0
		.amdhsa_float_denorm_mode_32 3
		.amdhsa_float_denorm_mode_16_64 3
		.amdhsa_dx10_clamp 1
		.amdhsa_ieee_mode 1
		.amdhsa_fp16_overflow 0
		.amdhsa_exception_fp_ieee_invalid_op 0
		.amdhsa_exception_fp_denorm_src 0
		.amdhsa_exception_fp_ieee_div_zero 0
		.amdhsa_exception_fp_ieee_overflow 0
		.amdhsa_exception_fp_ieee_underflow 0
		.amdhsa_exception_fp_ieee_inexact 0
		.amdhsa_exception_int_div_zero 0
	.end_amdhsa_kernel
	.text
.Lfunc_end1:
	.size	_Z15normalizeFilteriiPfPKf, .Lfunc_end1-_Z15normalizeFilteriiPfPKf
                                        ; -- End function
	.set _Z15normalizeFilteriiPfPKf.num_vgpr, 9
	.set _Z15normalizeFilteriiPfPKf.num_agpr, 0
	.set _Z15normalizeFilteriiPfPKf.numbered_sgpr, 8
	.set _Z15normalizeFilteriiPfPKf.num_named_barrier, 0
	.set _Z15normalizeFilteriiPfPKf.private_seg_size, 0
	.set _Z15normalizeFilteriiPfPKf.uses_vcc, 1
	.set _Z15normalizeFilteriiPfPKf.uses_flat_scratch, 0
	.set _Z15normalizeFilteriiPfPKf.has_dyn_sized_stack, 0
	.set _Z15normalizeFilteriiPfPKf.has_recursion, 0
	.set _Z15normalizeFilteriiPfPKf.has_indirect_call, 0
	.section	.AMDGPU.csdata,"",@progbits
; Kernel info:
; codeLenInByte = 260
; TotalNumSgprs: 12
; NumVgprs: 9
; ScratchSize: 0
; MemoryBound: 0
; FloatMode: 240
; IeeeMode: 1
; LDSByteSize: 0 bytes/workgroup (compile time only)
; SGPRBlocks: 1
; VGPRBlocks: 2
; NumSGPRsForWavesPerEU: 12
; NumVGPRsForWavesPerEU: 9
; Occupancy: 10
; WaveLimiterHint : 0
; COMPUTE_PGM_RSRC2:SCRATCH_EN: 0
; COMPUTE_PGM_RSRC2:USER_SGPR: 6
; COMPUTE_PGM_RSRC2:TRAP_HANDLER: 0
; COMPUTE_PGM_RSRC2:TGID_X_EN: 1
; COMPUTE_PGM_RSRC2:TGID_Y_EN: 1
; COMPUTE_PGM_RSRC2:TGID_Z_EN: 0
; COMPUTE_PGM_RSRC2:TIDIG_COMP_CNT: 1
	.text
	.protected	_Z9outFilteriiPKfPKiPf  ; -- Begin function _Z9outFilteriiPKfPKiPf
	.globl	_Z9outFilteriiPKfPKiPf
	.p2align	8
	.type	_Z9outFilteriiPKfPKiPf,@function
_Z9outFilteriiPKfPKiPf:                 ; @_Z9outFilteriiPKfPKiPf
; %bb.0:
	s_load_dword s0, s[4:5], 0x2c
	s_load_dwordx4 s[8:11], s[4:5], 0x0
	s_waitcnt lgkmcnt(0)
	s_lshr_b32 s14, s0, 16
	s_mul_i32 s7, s7, s14
	v_add_u32_e32 v8, s7, v1
	v_mul_lo_u32 v9, v8, s8
	s_and_b32 s16, s0, 0xffff
	s_mul_i32 s15, s6, s16
	v_add_u32_e32 v11, s15, v0
	v_add_u32_e32 v2, v9, v11
	v_cmp_gt_i32_e32 vcc, s8, v11
	v_cmp_gt_i32_e64 s[0:1], s9, v8
	v_mad_u32_u24 v10, v1, s16, v0
	s_and_b64 s[0:1], vcc, s[0:1]
	v_ashrrev_i32_e32 v3, 31, v2
	s_and_saveexec_b64 s[2:3], s[0:1]
	s_cbranch_execz .LBB2_2
; %bb.1:
	v_lshlrev_b64 v[4:5], 2, v[2:3]
	v_mov_b32_e32 v6, s11
	v_add_co_u32_e32 v4, vcc, s10, v4
	v_addc_co_u32_e32 v5, vcc, v6, v5, vcc
	global_load_dword v4, v[4:5], off
	v_lshlrev_b32_e32 v5, 2, v10
	s_waitcnt vmcnt(0)
	ds_write_b32 v5, v4
.LBB2_2:
	s_or_b64 exec, exec, s[2:3]
	s_waitcnt lgkmcnt(0)
	s_barrier
	s_and_saveexec_b64 s[2:3], s[0:1]
	s_cbranch_execz .LBB2_17
; %bb.3:
	s_load_dwordx4 s[4:7], s[4:5], 0x10
	v_lshlrev_b64 v[2:3], 2, v[2:3]
	v_mov_b32_e32 v6, 0
	s_waitcnt lgkmcnt(0)
	v_mov_b32_e32 v5, s5
	v_add_co_u32_e32 v4, vcc, s4, v2
	v_addc_co_u32_e32 v5, vcc, v5, v3, vcc
	global_load_dword v5, v[4:5], off
	v_mov_b32_e32 v4, 0
	s_waitcnt vmcnt(0)
	v_cmp_lt_i32_e32 vcc, -1, v5
	s_and_saveexec_b64 s[4:5], vcc
	s_cbranch_execz .LBB2_15
; %bb.4:
	v_add_u32_e32 v6, v5, v11
	v_cmp_gt_i32_e32 vcc, s8, v6
	v_min_i32_e32 v6, v11, v8
	v_cmp_ge_i32_e64 s[0:1], v6, v5
	v_add_u32_e32 v6, v5, v8
	v_cmp_gt_i32_e64 s[2:3], s9, v6
	s_and_b64 s[2:3], vcc, s[2:3]
	v_add_u32_e32 v6, v5, v0
	s_and_b64 s[12:13], s[2:3], s[0:1]
	v_cmp_le_u32_e64 s[0:1], s16, v6
	v_cmp_lt_u32_e64 s[2:3], v1, v5
	s_or_b64 s[0:1], s[2:3], s[0:1]
	v_cmp_ge_u32_e32 vcc, v0, v5
	s_xor_b64 s[2:3], s[0:1], -1
	v_add_u32_e32 v1, v5, v1
	v_cmp_gt_u32_e64 s[0:1], s14, v1
	s_and_b64 s[2:3], vcc, s[2:3]
	s_and_b64 s[0:1], s[2:3], s[0:1]
	s_not_b32 s2, s9
	s_lshl_b32 s8, s14, 2
	v_mul_lo_u32 v1, v5, s2
	s_xor_b32 s2, s8, -4
	v_mul_lo_u32 v6, v5, s2
	v_add_u32_e32 v0, v0, v9
	v_mov_b32_e32 v4, 0
	v_sub_u32_e32 v7, 0, v5
	v_lshl_or_b32 v8, v5, 1, 1
	v_add3_u32 v9, v0, v1, s15
	v_lshl_add_u32 v10, v10, 2, v6
	s_mov_b64 s[2:3], 0
	v_mov_b32_e32 v6, 0
	s_branch .LBB2_6
.LBB2_5:                                ;   in Loop: Header=BB2_6 Depth=1
	s_or_b64 exec, exec, s[14:15]
	v_add_u32_e32 v0, 1, v7
	v_cmp_eq_u32_e32 vcc, v7, v5
	v_add_u32_e32 v9, s9, v9
	v_add_u32_e32 v10, s8, v10
	s_or_b64 s[2:3], vcc, s[2:3]
	v_mov_b32_e32 v7, v0
	s_andn2_b64 exec, exec, s[2:3]
	s_cbranch_execz .LBB2_14
.LBB2_6:                                ; =>This Loop Header: Depth=1
                                        ;     Child Loop BB2_9 Depth 2
	s_mov_b64 s[14:15], 0
	v_mov_b32_e32 v11, v10
	v_mov_b32_e32 v0, v9
	;; [unrolled: 1-line block ×3, first 2 shown]
	s_branch .LBB2_9
.LBB2_7:                                ;   in Loop: Header=BB2_9 Depth=2
	s_or_b64 exec, exec, s[18:19]
	v_add_u32_e32 v4, 1, v4
.LBB2_8:                                ;   in Loop: Header=BB2_9 Depth=2
	s_or_b64 exec, exec, s[16:17]
	v_add_u32_e32 v12, -1, v12
	v_cmp_eq_u32_e32 vcc, 0, v12
	v_add_u32_e32 v0, 1, v0
	s_or_b64 s[14:15], vcc, s[14:15]
	v_add_u32_e32 v11, 4, v11
	s_andn2_b64 exec, exec, s[14:15]
	s_cbranch_execz .LBB2_5
.LBB2_9:                                ;   Parent Loop BB2_6 Depth=1
                                        ; =>  This Inner Loop Header: Depth=2
	s_and_saveexec_b64 s[16:17], s[12:13]
	s_cbranch_execz .LBB2_8
; %bb.10:                               ;   in Loop: Header=BB2_9 Depth=2
	s_and_saveexec_b64 s[18:19], s[0:1]
	s_xor_b64 s[18:19], exec, s[18:19]
	s_cbranch_execz .LBB2_12
; %bb.11:                               ;   in Loop: Header=BB2_9 Depth=2
	ds_read_b32 v1, v11
	s_waitcnt lgkmcnt(0)
	v_add_f32_e32 v6, v6, v1
.LBB2_12:                               ;   in Loop: Header=BB2_9 Depth=2
	s_andn2_saveexec_b64 s[18:19], s[18:19]
	s_cbranch_execz .LBB2_7
; %bb.13:                               ;   in Loop: Header=BB2_9 Depth=2
	v_ashrrev_i32_e32 v1, 31, v0
	v_lshlrev_b64 v[13:14], 2, v[0:1]
	v_mov_b32_e32 v1, s11
	v_add_co_u32_e32 v13, vcc, s10, v13
	v_addc_co_u32_e32 v14, vcc, v1, v14, vcc
	global_load_dword v1, v[13:14], off
	s_waitcnt vmcnt(0)
	v_add_f32_e32 v6, v6, v1
	s_branch .LBB2_7
.LBB2_14:
	s_or_b64 exec, exec, s[2:3]
.LBB2_15:
	s_or_b64 exec, exec, s[4:5]
	v_cmp_ne_u32_e32 vcc, 0, v4
	s_and_b64 exec, exec, vcc
	s_cbranch_execz .LBB2_17
; %bb.16:
	v_cvt_f32_i32_e32 v0, v4
	v_div_scale_f32 v1, s[0:1], v0, v0, v6
	v_div_scale_f32 v4, vcc, v6, v0, v6
	v_rcp_f32_e32 v5, v1
	v_fma_f32 v7, -v1, v5, 1.0
	v_fmac_f32_e32 v5, v7, v5
	v_mul_f32_e32 v7, v4, v5
	v_fma_f32 v8, -v1, v7, v4
	v_fmac_f32_e32 v7, v8, v5
	v_fma_f32 v1, -v1, v7, v4
	v_div_fmas_f32 v1, v1, v5, v7
	v_mov_b32_e32 v4, s7
	v_div_fixup_f32 v5, v1, v0, v6
	v_add_co_u32_e32 v0, vcc, s6, v2
	v_addc_co_u32_e32 v1, vcc, v4, v3, vcc
	global_store_dword v[0:1], v5, off
.LBB2_17:
	s_endpgm
	.section	.rodata,"a",@progbits
	.p2align	6, 0x0
	.amdhsa_kernel _Z9outFilteriiPKfPKiPf
		.amdhsa_group_segment_fixed_size 4096
		.amdhsa_private_segment_fixed_size 0
		.amdhsa_kernarg_size 288
		.amdhsa_user_sgpr_count 6
		.amdhsa_user_sgpr_private_segment_buffer 1
		.amdhsa_user_sgpr_dispatch_ptr 0
		.amdhsa_user_sgpr_queue_ptr 0
		.amdhsa_user_sgpr_kernarg_segment_ptr 1
		.amdhsa_user_sgpr_dispatch_id 0
		.amdhsa_user_sgpr_flat_scratch_init 0
		.amdhsa_user_sgpr_private_segment_size 0
		.amdhsa_uses_dynamic_stack 0
		.amdhsa_system_sgpr_private_segment_wavefront_offset 0
		.amdhsa_system_sgpr_workgroup_id_x 1
		.amdhsa_system_sgpr_workgroup_id_y 1
		.amdhsa_system_sgpr_workgroup_id_z 0
		.amdhsa_system_sgpr_workgroup_info 0
		.amdhsa_system_vgpr_workitem_id 1
		.amdhsa_next_free_vgpr 29
		.amdhsa_next_free_sgpr 61
		.amdhsa_reserve_vcc 1
		.amdhsa_reserve_flat_scratch 0
		.amdhsa_float_round_mode_32 0
		.amdhsa_float_round_mode_16_64 0
		.amdhsa_float_denorm_mode_32 3
		.amdhsa_float_denorm_mode_16_64 3
		.amdhsa_dx10_clamp 1
		.amdhsa_ieee_mode 1
		.amdhsa_fp16_overflow 0
		.amdhsa_exception_fp_ieee_invalid_op 0
		.amdhsa_exception_fp_denorm_src 0
		.amdhsa_exception_fp_ieee_div_zero 0
		.amdhsa_exception_fp_ieee_overflow 0
		.amdhsa_exception_fp_ieee_underflow 0
		.amdhsa_exception_fp_ieee_inexact 0
		.amdhsa_exception_int_div_zero 0
	.end_amdhsa_kernel
	.text
.Lfunc_end2:
	.size	_Z9outFilteriiPKfPKiPf, .Lfunc_end2-_Z9outFilteriiPKfPKiPf
                                        ; -- End function
	.set _Z9outFilteriiPKfPKiPf.num_vgpr, 15
	.set _Z9outFilteriiPKfPKiPf.num_agpr, 0
	.set _Z9outFilteriiPKfPKiPf.numbered_sgpr, 20
	.set _Z9outFilteriiPKfPKiPf.num_named_barrier, 0
	.set _Z9outFilteriiPKfPKiPf.private_seg_size, 0
	.set _Z9outFilteriiPKfPKiPf.uses_vcc, 1
	.set _Z9outFilteriiPKfPKiPf.uses_flat_scratch, 0
	.set _Z9outFilteriiPKfPKiPf.has_dyn_sized_stack, 0
	.set _Z9outFilteriiPKfPKiPf.has_recursion, 0
	.set _Z9outFilteriiPKfPKiPf.has_indirect_call, 0
	.section	.AMDGPU.csdata,"",@progbits
; Kernel info:
; codeLenInByte = 696
; TotalNumSgprs: 24
; NumVgprs: 15
; ScratchSize: 0
; MemoryBound: 0
; FloatMode: 240
; IeeeMode: 1
; LDSByteSize: 4096 bytes/workgroup (compile time only)
; SGPRBlocks: 8
; VGPRBlocks: 7
; NumSGPRsForWavesPerEU: 65
; NumVGPRsForWavesPerEU: 29
; Occupancy: 8
; WaveLimiterHint : 0
; COMPUTE_PGM_RSRC2:SCRATCH_EN: 0
; COMPUTE_PGM_RSRC2:USER_SGPR: 6
; COMPUTE_PGM_RSRC2:TRAP_HANDLER: 0
; COMPUTE_PGM_RSRC2:TGID_X_EN: 1
; COMPUTE_PGM_RSRC2:TGID_Y_EN: 1
; COMPUTE_PGM_RSRC2:TGID_Z_EN: 0
; COMPUTE_PGM_RSRC2:TIDIG_COMP_CNT: 1
	.section	.AMDGPU.gpr_maximums,"",@progbits
	.set amdgpu.max_num_vgpr, 0
	.set amdgpu.max_num_agpr, 0
	.set amdgpu.max_num_sgpr, 0
	.section	.AMDGPU.csdata,"",@progbits
	.type	__hip_cuid_dfdd7f8cbc2b6050,@object ; @__hip_cuid_dfdd7f8cbc2b6050
	.section	.bss,"aw",@nobits
	.globl	__hip_cuid_dfdd7f8cbc2b6050
__hip_cuid_dfdd7f8cbc2b6050:
	.byte	0                               ; 0x0
	.size	__hip_cuid_dfdd7f8cbc2b6050, 1

	.ident	"AMD clang version 22.0.0git (https://github.com/RadeonOpenCompute/llvm-project roc-7.2.4 26084 f58b06dce1f9c15707c5f808fd002e18c2accf7e)"
	.section	".note.GNU-stack","",@progbits
	.addrsig
	.addrsig_sym __hip_cuid_dfdd7f8cbc2b6050
	.amdgpu_metadata
---
amdhsa.kernels:
  - .args:
      - .offset:         0
        .size:           4
        .value_kind:     by_value
      - .offset:         4
        .size:           4
        .value_kind:     by_value
      - .offset:         8
        .size:           4
        .value_kind:     by_value
      - .offset:         12
        .size:           4
        .value_kind:     by_value
      - .actual_access:  read_only
        .address_space:  global
        .offset:         16
        .size:           8
        .value_kind:     global_buffer
      - .actual_access:  write_only
        .address_space:  global
        .offset:         24
        .size:           8
        .value_kind:     global_buffer
      - .address_space:  global
        .offset:         32
        .size:           8
        .value_kind:     global_buffer
      - .offset:         40
        .size:           4
        .value_kind:     hidden_block_count_x
      - .offset:         44
        .size:           4
        .value_kind:     hidden_block_count_y
      - .offset:         48
        .size:           4
        .value_kind:     hidden_block_count_z
      - .offset:         52
        .size:           2
        .value_kind:     hidden_group_size_x
      - .offset:         54
        .size:           2
        .value_kind:     hidden_group_size_y
      - .offset:         56
        .size:           2
        .value_kind:     hidden_group_size_z
      - .offset:         58
        .size:           2
        .value_kind:     hidden_remainder_x
      - .offset:         60
        .size:           2
        .value_kind:     hidden_remainder_y
      - .offset:         62
        .size:           2
        .value_kind:     hidden_remainder_z
      - .offset:         80
        .size:           8
        .value_kind:     hidden_global_offset_x
      - .offset:         88
        .size:           8
        .value_kind:     hidden_global_offset_y
      - .offset:         96
        .size:           8
        .value_kind:     hidden_global_offset_z
      - .offset:         104
        .size:           2
        .value_kind:     hidden_grid_dims
    .group_segment_fixed_size: 4096
    .kernarg_segment_align: 8
    .kernarg_segment_size: 296
    .language:       OpenCL C
    .language_version:
      - 2
      - 0
    .max_flat_workgroup_size: 1024
    .name:           _Z15smoothingFilteriiiiPKfPiPf
    .private_segment_fixed_size: 0
    .sgpr_count:     33
    .sgpr_spill_count: 0
    .symbol:         _Z15smoothingFilteriiiiPKfPiPf.kd
    .uniform_work_group_size: 1
    .uses_dynamic_stack: false
    .vgpr_count:     20
    .vgpr_spill_count: 0
    .wavefront_size: 64
  - .args:
      - .offset:         0
        .size:           4
        .value_kind:     by_value
      - .offset:         4
        .size:           4
        .value_kind:     by_value
      - .address_space:  global
        .offset:         8
        .size:           8
        .value_kind:     global_buffer
      - .actual_access:  read_only
        .address_space:  global
        .offset:         16
        .size:           8
        .value_kind:     global_buffer
      - .offset:         24
        .size:           4
        .value_kind:     hidden_block_count_x
      - .offset:         28
        .size:           4
        .value_kind:     hidden_block_count_y
      - .offset:         32
        .size:           4
        .value_kind:     hidden_block_count_z
      - .offset:         36
        .size:           2
        .value_kind:     hidden_group_size_x
      - .offset:         38
        .size:           2
        .value_kind:     hidden_group_size_y
      - .offset:         40
        .size:           2
        .value_kind:     hidden_group_size_z
      - .offset:         42
        .size:           2
        .value_kind:     hidden_remainder_x
      - .offset:         44
        .size:           2
        .value_kind:     hidden_remainder_y
      - .offset:         46
        .size:           2
        .value_kind:     hidden_remainder_z
      - .offset:         64
        .size:           8
        .value_kind:     hidden_global_offset_x
      - .offset:         72
        .size:           8
        .value_kind:     hidden_global_offset_y
      - .offset:         80
        .size:           8
        .value_kind:     hidden_global_offset_z
      - .offset:         88
        .size:           2
        .value_kind:     hidden_grid_dims
    .group_segment_fixed_size: 0
    .kernarg_segment_align: 8
    .kernarg_segment_size: 280
    .language:       OpenCL C
    .language_version:
      - 2
      - 0
    .max_flat_workgroup_size: 1024
    .name:           _Z15normalizeFilteriiPfPKf
    .private_segment_fixed_size: 0
    .sgpr_count:     12
    .sgpr_spill_count: 0
    .symbol:         _Z15normalizeFilteriiPfPKf.kd
    .uniform_work_group_size: 1
    .uses_dynamic_stack: false
    .vgpr_count:     9
    .vgpr_spill_count: 0
    .wavefront_size: 64
  - .args:
      - .offset:         0
        .size:           4
        .value_kind:     by_value
      - .offset:         4
        .size:           4
        .value_kind:     by_value
      - .actual_access:  read_only
        .address_space:  global
        .offset:         8
        .size:           8
        .value_kind:     global_buffer
      - .actual_access:  read_only
        .address_space:  global
        .offset:         16
        .size:           8
        .value_kind:     global_buffer
      - .actual_access:  write_only
        .address_space:  global
        .offset:         24
        .size:           8
        .value_kind:     global_buffer
      - .offset:         32
        .size:           4
        .value_kind:     hidden_block_count_x
      - .offset:         36
        .size:           4
        .value_kind:     hidden_block_count_y
      - .offset:         40
        .size:           4
        .value_kind:     hidden_block_count_z
      - .offset:         44
        .size:           2
        .value_kind:     hidden_group_size_x
      - .offset:         46
        .size:           2
        .value_kind:     hidden_group_size_y
      - .offset:         48
        .size:           2
        .value_kind:     hidden_group_size_z
      - .offset:         50
        .size:           2
        .value_kind:     hidden_remainder_x
      - .offset:         52
        .size:           2
        .value_kind:     hidden_remainder_y
      - .offset:         54
        .size:           2
        .value_kind:     hidden_remainder_z
      - .offset:         72
        .size:           8
        .value_kind:     hidden_global_offset_x
      - .offset:         80
        .size:           8
        .value_kind:     hidden_global_offset_y
      - .offset:         88
        .size:           8
        .value_kind:     hidden_global_offset_z
      - .offset:         96
        .size:           2
        .value_kind:     hidden_grid_dims
    .group_segment_fixed_size: 4096
    .kernarg_segment_align: 8
    .kernarg_segment_size: 288
    .language:       OpenCL C
    .language_version:
      - 2
      - 0
    .max_flat_workgroup_size: 1024
    .name:           _Z9outFilteriiPKfPKiPf
    .private_segment_fixed_size: 0
    .sgpr_count:     24
    .sgpr_spill_count: 0
    .symbol:         _Z9outFilteriiPKfPKiPf.kd
    .uniform_work_group_size: 1
    .uses_dynamic_stack: false
    .vgpr_count:     15
    .vgpr_spill_count: 0
    .wavefront_size: 64
amdhsa.target:   amdgcn-amd-amdhsa--gfx906
amdhsa.version:
  - 1
  - 2
...

	.end_amdgpu_metadata
